;; amdgpu-corpus repo=ROCm/rocFFT kind=compiled arch=gfx1030 opt=O3
	.text
	.amdgcn_target "amdgcn-amd-amdhsa--gfx1030"
	.amdhsa_code_object_version 6
	.protected	bluestein_single_back_len378_dim1_dp_op_CI_CI ; -- Begin function bluestein_single_back_len378_dim1_dp_op_CI_CI
	.globl	bluestein_single_back_len378_dim1_dp_op_CI_CI
	.p2align	8
	.type	bluestein_single_back_len378_dim1_dp_op_CI_CI,@function
bluestein_single_back_len378_dim1_dp_op_CI_CI: ; @bluestein_single_back_len378_dim1_dp_op_CI_CI
; %bb.0:
	s_load_dwordx4 s[0:3], s[4:5], 0x28
	v_mul_u32_u24_e32 v1, 0x209, v0
	v_mov_b32_e32 v69, 0
	v_lshrrev_b32_e32 v1, 16, v1
	v_add_nc_u32_e32 v68, s6, v1
	s_waitcnt lgkmcnt(0)
	v_cmp_gt_u64_e32 vcc_lo, s[0:1], v[68:69]
	s_and_saveexec_b32 s0, vcc_lo
	s_cbranch_execz .LBB0_23
; %bb.1:
	s_clause 0x1
	s_load_dwordx2 s[14:15], s[4:5], 0x0
	s_load_dwordx2 s[12:13], s[4:5], 0x38
	v_mul_lo_u16 v1, 0x7e, v1
	v_sub_nc_u16 v0, v0, v1
	v_and_b32_e32 v81, 0xffff, v0
	v_cmp_gt_u16_e32 vcc_lo, 63, v0
	v_lshlrev_b32_e32 v82, 4, v81
	s_and_saveexec_b32 s1, vcc_lo
	s_cbranch_execz .LBB0_3
; %bb.2:
	s_load_dwordx2 s[6:7], s[4:5], 0x18
	s_waitcnt lgkmcnt(0)
	v_add_co_u32 v18, s0, s14, v82
	v_add_co_ci_u32_e64 v19, null, s15, 0, s0
	s_load_dwordx4 s[8:11], s[6:7], 0x0
	s_waitcnt lgkmcnt(0)
	v_mad_u64_u32 v[4:5], null, s10, v68, 0
	v_mad_u64_u32 v[12:13], null, s8, v81, 0
	s_mul_i32 s6, s9, 0x3f0
	s_mul_hi_u32 s7, s8, 0x3f0
	s_add_i32 s7, s7, s6
	v_mov_b32_e32 v0, v5
	v_mov_b32_e32 v1, v13
	v_mad_u64_u32 v[5:6], null, s11, v68, v[0:1]
	v_mad_u64_u32 v[6:7], null, s9, v81, v[1:2]
	global_load_dwordx4 v[0:3], v82, s[14:15]
	v_lshlrev_b64 v[14:15], 4, v[4:5]
	v_mov_b32_e32 v13, v6
	s_clause 0x1
	global_load_dwordx4 v[4:7], v82, s[14:15] offset:1008
	global_load_dwordx4 v[8:11], v82, s[14:15] offset:2016
	v_add_co_u32 v14, s0, s2, v14
	v_lshlrev_b64 v[12:13], 4, v[12:13]
	v_add_co_ci_u32_e64 v15, s0, s3, v15, s0
	s_mul_i32 s2, s8, 0x3f0
	v_add_co_u32 v12, s0, v14, v12
	v_add_co_ci_u32_e64 v13, s0, v15, v13, s0
	v_add_co_u32 v16, s0, v12, s2
	v_add_co_ci_u32_e64 v17, s0, s7, v13, s0
	;; [unrolled: 2-line block ×6, first 2 shown]
	s_clause 0x1
	global_load_dwordx4 v[12:15], v[12:13], off
	global_load_dwordx4 v[16:19], v[16:17], off
	v_add_co_u32 v36, s0, v24, s2
	v_add_co_ci_u32_e64 v37, s0, s7, v25, s0
	s_clause 0x1
	global_load_dwordx4 v[20:23], v[20:21], off
	global_load_dwordx4 v[24:27], v[24:25], off
	v_add_co_u32 v44, s0, v36, s2
	v_add_co_ci_u32_e64 v45, s0, s7, v37, s0
	s_clause 0x1
	global_load_dwordx4 v[28:31], v[32:33], off offset:976
	global_load_dwordx4 v[32:35], v[32:33], off offset:1984
	global_load_dwordx4 v[36:39], v[36:37], off
	global_load_dwordx4 v[40:43], v[40:41], off offset:944
	global_load_dwordx4 v[44:47], v[44:45], off
	s_waitcnt vmcnt(8)
	v_mul_f64 v[48:49], v[14:15], v[2:3]
	v_mul_f64 v[2:3], v[12:13], v[2:3]
	s_waitcnt vmcnt(7)
	v_mul_f64 v[50:51], v[18:19], v[6:7]
	v_mul_f64 v[6:7], v[16:17], v[6:7]
	;; [unrolled: 3-line block ×6, first 2 shown]
	v_fma_f64 v[10:11], v[12:13], v[0:1], v[48:49]
	v_fma_f64 v[12:13], v[14:15], v[0:1], -v[2:3]
	v_fma_f64 v[0:1], v[16:17], v[4:5], v[50:51]
	v_fma_f64 v[2:3], v[18:19], v[4:5], -v[6:7]
	;; [unrolled: 2-line block ×6, first 2 shown]
	ds_write_b128 v82, v[10:13]
	ds_write_b128 v82, v[0:3] offset:1008
	ds_write_b128 v82, v[4:7] offset:2016
	;; [unrolled: 1-line block ×5, first 2 shown]
.LBB0_3:
	s_or_b32 exec_lo, exec_lo, s1
	s_clause 0x1
	s_load_dwordx2 s[6:7], s[4:5], 0x20
	s_load_dwordx2 s[2:3], s[4:5], 0x8
	s_waitcnt lgkmcnt(0)
	s_barrier
	buffer_gl0_inv
                                        ; implicit-def: $vgpr0_vgpr1
                                        ; implicit-def: $vgpr4_vgpr5
                                        ; implicit-def: $vgpr8_vgpr9
                                        ; implicit-def: $vgpr12_vgpr13
                                        ; implicit-def: $vgpr16_vgpr17
                                        ; implicit-def: $vgpr20_vgpr21
	s_and_saveexec_b32 s0, vcc_lo
	s_cbranch_execz .LBB0_5
; %bb.4:
	ds_read_b128 v[0:3], v82
	ds_read_b128 v[4:7], v82 offset:1008
	ds_read_b128 v[8:11], v82 offset:2016
	;; [unrolled: 1-line block ×5, first 2 shown]
.LBB0_5:
	s_or_b32 exec_lo, exec_lo, s0
	s_waitcnt lgkmcnt(0)
	v_add_f64 v[24:25], v[14:15], v[22:23]
	v_add_f64 v[26:27], v[12:13], v[20:21]
	v_add_f64 v[28:29], v[14:15], -v[22:23]
	v_add_f64 v[30:31], v[12:13], -v[20:21]
	s_mov_b32 s0, 0xe8584caa
	s_mov_b32 s1, 0x3febb67a
	;; [unrolled: 1-line block ×4, first 2 shown]
	v_add_f64 v[32:33], v[8:9], v[16:17]
	v_add_f64 v[34:35], v[10:11], v[18:19]
	v_mul_lo_u16 v83, v81, 6
	s_barrier
	buffer_gl0_inv
	v_fma_f64 v[24:25], v[24:25], -0.5, v[6:7]
	v_fma_f64 v[26:27], v[26:27], -0.5, v[4:5]
	v_add_f64 v[4:5], v[4:5], v[12:13]
	v_add_f64 v[6:7], v[6:7], v[14:15]
	v_fma_f64 v[32:33], v[32:33], -0.5, v[0:1]
	v_fma_f64 v[34:35], v[34:35], -0.5, v[2:3]
	v_fma_f64 v[36:37], v[30:31], s[8:9], v[24:25]
	v_fma_f64 v[38:39], v[28:29], s[8:9], v[26:27]
	v_fma_f64 v[26:27], v[28:29], s[0:1], v[26:27]
	v_fma_f64 v[24:25], v[30:31], s[0:1], v[24:25]
	v_add_f64 v[28:29], v[0:1], v[8:9]
	v_add_f64 v[30:31], v[10:11], -v[18:19]
	v_add_f64 v[10:11], v[2:3], v[10:11]
	v_add_f64 v[8:9], v[8:9], -v[16:17]
	v_add_f64 v[2:3], v[4:5], v[20:21]
	v_add_f64 v[14:15], v[6:7], v[22:23]
	v_mul_f64 v[40:41], v[36:37], s[0:1]
	v_mul_f64 v[42:43], v[38:39], -0.5
	v_mul_f64 v[44:45], v[26:27], s[8:9]
	v_mul_f64 v[46:47], v[24:25], -0.5
	v_add_f64 v[0:1], v[28:29], v[16:17]
	v_fma_f64 v[4:5], v[30:31], s[0:1], v[32:33]
	v_add_f64 v[12:13], v[10:11], v[18:19]
	v_fma_f64 v[6:7], v[30:31], s[8:9], v[32:33]
	v_fma_f64 v[16:17], v[8:9], s[8:9], v[34:35]
	;; [unrolled: 1-line block ×3, first 2 shown]
	v_fma_f64 v[8:9], v[26:27], 0.5, v[40:41]
	v_fma_f64 v[10:11], v[24:25], s[0:1], v[42:43]
	v_fma_f64 v[20:21], v[36:37], 0.5, v[44:45]
	v_fma_f64 v[22:23], v[38:39], s[8:9], v[46:47]
	v_add_f64 v[40:41], v[0:1], -v[2:3]
	v_add_f64 v[42:43], v[12:13], -v[14:15]
	;; [unrolled: 1-line block ×6, first 2 shown]
	s_and_saveexec_b32 s4, vcc_lo
	s_cbranch_execz .LBB0_7
; %bb.6:
	v_add_f64 v[14:15], v[12:13], v[14:15]
	v_add_f64 v[12:13], v[0:1], v[2:3]
	v_add_f64 v[18:19], v[18:19], v[22:23]
	v_add_f64 v[22:23], v[16:17], v[20:21]
	v_add_f64 v[20:21], v[4:5], v[8:9]
	v_add_f64 v[16:17], v[6:7], v[10:11]
	v_mov_b32_e32 v0, 4
	v_lshlrev_b32_sdwa v0, v0, v83 dst_sel:DWORD dst_unused:UNUSED_PAD src0_sel:DWORD src1_sel:WORD_0
	ds_write_b128 v0, v[40:43] offset:48
	ds_write_b128 v0, v[44:47] offset:64
	ds_write_b128 v0, v[12:15]
	ds_write_b128 v0, v[20:23] offset:16
	ds_write_b128 v0, v[16:19] offset:32
	;; [unrolled: 1-line block ×3, first 2 shown]
.LBB0_7:
	s_or_b32 exec_lo, exec_lo, s4
	v_and_b32_e32 v8, 0xff, v81
	s_load_dwordx4 s[4:7], s[6:7], 0x0
	s_waitcnt lgkmcnt(0)
	s_barrier
	buffer_gl0_inv
	v_mul_lo_u16 v0, 0xab, v8
                                        ; implicit-def: $vgpr64_vgpr65
	v_lshrrev_b16 v31, 10, v0
	v_mul_lo_u16 v0, v31, 6
	v_sub_nc_u16 v0, v81, v0
	v_and_b32_e32 v32, 0xff, v0
	v_lshlrev_b32_e32 v0, 5, v32
	s_clause 0x1
	global_load_dwordx4 v[4:7], v0, s[2:3]
	global_load_dwordx4 v[0:3], v0, s[2:3] offset:16
	ds_read_b128 v[9:12], v82 offset:2016
	ds_read_b128 v[13:16], v82 offset:4032
	s_waitcnt vmcnt(1) lgkmcnt(1)
	v_mul_f64 v[17:18], v[11:12], v[6:7]
	s_waitcnt vmcnt(0) lgkmcnt(0)
	v_mul_f64 v[19:20], v[15:16], v[2:3]
	v_mul_f64 v[21:22], v[9:10], v[6:7]
	;; [unrolled: 1-line block ×3, first 2 shown]
	v_fma_f64 v[17:18], v[9:10], v[4:5], -v[17:18]
	v_fma_f64 v[13:14], v[13:14], v[0:1], -v[19:20]
	v_fma_f64 v[19:20], v[11:12], v[4:5], v[21:22]
	v_fma_f64 v[15:16], v[15:16], v[0:1], v[23:24]
	ds_read_b128 v[9:12], v82
	s_waitcnt lgkmcnt(0)
	s_barrier
	buffer_gl0_inv
	v_add_f64 v[21:22], v[17:18], v[13:14]
	v_add_f64 v[25:26], v[9:10], v[17:18]
	;; [unrolled: 1-line block ×3, first 2 shown]
	v_add_f64 v[27:28], v[19:20], -v[15:16]
	v_add_f64 v[19:20], v[11:12], v[19:20]
	v_add_f64 v[29:30], v[17:18], -v[13:14]
	v_fma_f64 v[21:22], v[21:22], -0.5, v[9:10]
	v_mul_lo_u16 v9, v8, 57
	v_fma_f64 v[23:24], v[23:24], -0.5, v[11:12]
	v_add_f64 v[11:12], v[19:20], v[15:16]
	v_lshrrev_b16 v38, 10, v9
	v_add_f64 v[9:10], v[25:26], v[13:14]
	v_fma_f64 v[13:14], v[27:28], s[0:1], v[21:22]
	v_fma_f64 v[17:18], v[27:28], s[8:9], v[21:22]
	v_fma_f64 v[15:16], v[29:30], s[8:9], v[23:24]
	v_fma_f64 v[19:20], v[29:30], s[0:1], v[23:24]
	v_mul_lo_u16 v21, v38, 18
	v_mov_b32_e32 v22, 18
	v_sub_nc_u16 v21, v81, v21
	v_mul_u32_u24_sdwa v22, v31, v22 dst_sel:DWORD dst_unused:UNUSED_PAD src0_sel:WORD_0 src1_sel:DWORD
	v_and_b32_e32 v39, 0xff, v21
	v_add_lshl_u32 v85, v22, v32, 4
	ds_write_b128 v85, v[9:12]
	ds_write_b128 v85, v[13:16] offset:96
	ds_write_b128 v85, v[17:20] offset:192
	v_lshlrev_b32_e32 v24, 5, v39
	s_waitcnt lgkmcnt(0)
	s_barrier
	buffer_gl0_inv
	s_clause 0x1
	global_load_dwordx4 v[20:23], v24, s[2:3] offset:192
	global_load_dwordx4 v[16:19], v24, s[2:3] offset:208
	ds_read_b128 v[9:12], v82 offset:2016
	ds_read_b128 v[24:27], v82 offset:4032
	s_waitcnt vmcnt(1) lgkmcnt(1)
	v_mul_f64 v[13:14], v[11:12], v[22:23]
	s_waitcnt vmcnt(0) lgkmcnt(0)
	v_mul_f64 v[28:29], v[26:27], v[18:19]
	v_mul_f64 v[30:31], v[9:10], v[22:23]
	;; [unrolled: 1-line block ×3, first 2 shown]
	v_fma_f64 v[13:14], v[9:10], v[20:21], -v[13:14]
	v_fma_f64 v[24:25], v[24:25], v[16:17], -v[28:29]
	v_fma_f64 v[28:29], v[11:12], v[20:21], v[30:31]
	v_fma_f64 v[26:27], v[26:27], v[16:17], v[32:33]
	ds_read_b128 v[9:12], v82
	s_waitcnt lgkmcnt(0)
	s_barrier
	buffer_gl0_inv
	v_add_f64 v[30:31], v[13:14], v[24:25]
	v_add_f64 v[34:35], v[9:10], v[13:14]
	;; [unrolled: 1-line block ×3, first 2 shown]
	v_add_f64 v[36:37], v[28:29], -v[26:27]
	v_add_f64 v[28:29], v[11:12], v[28:29]
	v_add_f64 v[13:14], v[13:14], -v[24:25]
	v_fma_f64 v[9:10], v[30:31], -0.5, v[9:10]
	v_add_f64 v[52:53], v[34:35], v[24:25]
	v_fma_f64 v[11:12], v[32:33], -0.5, v[11:12]
	v_add_f64 v[54:55], v[28:29], v[26:27]
	v_fma_f64 v[56:57], v[36:37], s[0:1], v[9:10]
	v_fma_f64 v[60:61], v[36:37], s[8:9], v[9:10]
	;; [unrolled: 1-line block ×4, first 2 shown]
	v_mov_b32_e32 v9, 54
	v_cmp_gt_u16_e64 s0, 54, v81
	v_mul_u32_u24_sdwa v9, v38, v9 dst_sel:DWORD dst_unused:UNUSED_PAD src0_sel:WORD_0 src1_sel:DWORD
	v_add_lshl_u32 v84, v9, v39, 4
	ds_write_b128 v84, v[52:55]
	ds_write_b128 v84, v[56:59] offset:288
	ds_write_b128 v84, v[60:63] offset:576
	s_waitcnt lgkmcnt(0)
	s_barrier
	buffer_gl0_inv
	s_and_saveexec_b32 s1, s0
	s_cbranch_execz .LBB0_9
; %bb.8:
	ds_read_b128 v[52:55], v82
	ds_read_b128 v[56:59], v82 offset:864
	ds_read_b128 v[60:63], v82 offset:1728
	;; [unrolled: 1-line block ×6, first 2 shown]
.LBB0_9:
	s_or_b32 exec_lo, exec_lo, s1
	v_mul_lo_u16 v8, v8, 19
	s_mov_b32 s10, 0xe976ee23
	s_mov_b32 s11, 0xbfe11646
	;; [unrolled: 1-line block ×4, first 2 shown]
	v_lshrrev_b16 v8, 10, v8
	s_mov_b32 s17, 0x3fd5d0dc
	s_mov_b32 s16, 0xb247c609
	;; [unrolled: 1-line block ×4, first 2 shown]
	v_mul_lo_u16 v8, v8, 54
	v_sub_nc_u16 v8, v81, v8
	v_and_b32_e32 v8, 0xff, v8
	v_mad_u64_u32 v[24:25], null, 0x60, v8, s[2:3]
	s_mov_b32 s2, 0x36b3c0b5
	s_mov_b32 s3, 0x3fac98ee
	s_clause 0x5
	global_load_dwordx4 v[12:15], v[24:25], off offset:768
	global_load_dwordx4 v[8:11], v[24:25], off offset:784
	;; [unrolled: 1-line block ×6, first 2 shown]
	s_waitcnt vmcnt(5) lgkmcnt(5)
	v_mul_f64 v[69:70], v[58:59], v[14:15]
	v_mul_f64 v[71:72], v[56:57], v[14:15]
	s_waitcnt vmcnt(4) lgkmcnt(4)
	v_mul_f64 v[73:74], v[62:63], v[10:11]
	v_mul_f64 v[75:76], v[60:61], v[10:11]
	s_waitcnt vmcnt(3) lgkmcnt(0)
	v_mul_f64 v[77:78], v[66:67], v[38:39]
	s_waitcnt vmcnt(2)
	v_mul_f64 v[79:80], v[50:51], v[34:35]
	v_mul_f64 v[86:87], v[64:65], v[38:39]
	;; [unrolled: 1-line block ×3, first 2 shown]
	s_waitcnt vmcnt(1)
	v_mul_f64 v[90:91], v[42:43], v[30:31]
	v_mul_f64 v[92:93], v[40:41], v[30:31]
	s_waitcnt vmcnt(0)
	v_mul_f64 v[94:95], v[46:47], v[26:27]
	v_mul_f64 v[96:97], v[44:45], v[26:27]
	v_fma_f64 v[56:57], v[56:57], v[12:13], -v[69:70]
	v_fma_f64 v[58:59], v[58:59], v[12:13], v[71:72]
	v_fma_f64 v[60:61], v[60:61], v[8:9], -v[73:74]
	v_fma_f64 v[62:63], v[62:63], v[8:9], v[75:76]
	v_fma_f64 v[64:65], v[64:65], v[36:37], -v[77:78]
	v_fma_f64 v[48:49], v[48:49], v[32:33], -v[79:80]
	v_fma_f64 v[66:67], v[66:67], v[36:37], v[86:87]
	v_fma_f64 v[50:51], v[50:51], v[32:33], v[88:89]
	v_fma_f64 v[40:41], v[40:41], v[28:29], -v[90:91]
	v_fma_f64 v[42:43], v[42:43], v[28:29], v[92:93]
	v_fma_f64 v[44:45], v[44:45], v[24:25], -v[94:95]
	v_fma_f64 v[46:47], v[46:47], v[24:25], v[96:97]
	v_add_f64 v[69:70], v[56:57], v[64:65]
	v_add_f64 v[71:72], v[60:61], v[48:49]
	;; [unrolled: 1-line block ×4, first 2 shown]
	v_add_f64 v[48:49], v[60:61], -v[48:49]
	v_add_f64 v[56:57], v[56:57], -v[64:65]
	v_add_f64 v[77:78], v[40:41], v[44:45]
	v_add_f64 v[79:80], v[42:43], v[46:47]
	v_add_f64 v[40:41], v[44:45], -v[40:41]
	v_add_f64 v[44:45], v[62:63], -v[50:51]
	;; [unrolled: 1-line block ×4, first 2 shown]
	v_add_f64 v[46:47], v[71:72], v[69:70]
	v_add_f64 v[50:51], v[75:76], v[73:74]
	v_add_f64 v[88:89], v[48:49], -v[56:57]
	v_add_f64 v[60:61], v[77:78], -v[71:72]
	v_add_f64 v[62:63], v[79:80], -v[75:76]
	v_add_f64 v[64:65], v[40:41], -v[48:49]
	v_add_f64 v[48:49], v[40:41], v[48:49]
	v_add_f64 v[66:67], v[42:43], -v[44:45]
	v_add_f64 v[90:91], v[44:45], -v[58:59]
	v_add_f64 v[40:41], v[56:57], -v[40:41]
	v_add_f64 v[86:87], v[77:78], v[46:47]
	v_add_f64 v[77:78], v[69:70], -v[77:78]
	v_add_f64 v[50:51], v[79:80], v[50:51]
	v_add_f64 v[79:80], v[73:74], -v[79:80]
	v_add_f64 v[69:70], v[71:72], -v[69:70]
	v_add_f64 v[71:72], v[75:76], -v[73:74]
	v_add_f64 v[73:74], v[42:43], v[44:45]
	v_mul_f64 v[64:65], v[64:65], s[10:11]
	v_mul_f64 v[75:76], v[60:61], s[2:3]
	;; [unrolled: 1-line block ×3, first 2 shown]
	s_mov_b32 s10, 0x429ad128
	v_mul_f64 v[92:93], v[62:63], s[2:3]
	v_add_f64 v[42:43], v[58:59], -v[42:43]
	s_mov_b32 s11, 0x3febfeb5
	v_add_f64 v[48:49], v[48:49], v[56:57]
	v_add_f64 v[44:45], v[52:53], v[86:87]
	v_mul_f64 v[52:53], v[88:89], s[10:11]
	v_add_f64 v[46:47], v[54:55], v[50:51]
	v_mul_f64 v[54:55], v[90:91], s[10:11]
	v_mul_f64 v[77:78], v[77:78], s[8:9]
	;; [unrolled: 1-line block ×3, first 2 shown]
	s_mov_b32 s9, 0x3fe77f67
	s_mov_b32 s8, 0x5476071b
	v_add_f64 v[56:57], v[73:74], v[58:59]
	v_fma_f64 v[58:59], v[69:70], s[8:9], -v[75:76]
	v_fma_f64 v[75:76], v[88:89], s[10:11], -v[64:65]
	;; [unrolled: 1-line block ×3, first 2 shown]
	s_mov_b32 s9, 0xbfe77f67
	v_fma_f64 v[64:65], v[40:41], s[16:17], v[64:65]
	v_fma_f64 v[88:89], v[42:43], s[16:17], v[66:67]
	s_mov_b32 s17, 0xbfd5d0dc
	v_fma_f64 v[66:67], v[90:91], s[10:11], -v[66:67]
	v_fma_f64 v[86:87], v[86:87], s[18:19], v[44:45]
	v_fma_f64 v[40:41], v[40:41], s[16:17], -v[52:53]
	v_fma_f64 v[50:51], v[50:51], s[18:19], v[46:47]
	v_fma_f64 v[42:43], v[42:43], s[16:17], -v[54:55]
	v_fma_f64 v[52:53], v[69:70], s[8:9], -v[77:78]
	;; [unrolled: 1-line block ×3, first 2 shown]
	v_fma_f64 v[60:61], v[60:61], s[2:3], v[77:78]
	v_fma_f64 v[62:63], v[62:63], s[2:3], v[79:80]
	s_mov_b32 s2, 0x37c3f68c
	s_mov_b32 s3, 0x3fdc38aa
	v_fma_f64 v[69:70], v[48:49], s[2:3], v[75:76]
	v_fma_f64 v[77:78], v[48:49], s[2:3], v[64:65]
	;; [unrolled: 1-line block ×4, first 2 shown]
	v_add_f64 v[58:59], v[58:59], v[86:87]
	v_fma_f64 v[40:41], v[48:49], s[2:3], v[40:41]
	v_add_f64 v[71:72], v[73:74], v[50:51]
	v_fma_f64 v[42:43], v[56:57], s[2:3], v[42:43]
	v_add_f64 v[73:74], v[52:53], v[86:87]
	v_add_f64 v[75:76], v[54:55], v[50:51]
	v_add_f64 v[86:87], v[60:61], v[86:87]
	v_add_f64 v[88:89], v[62:63], v[50:51]
	v_add_f64 v[60:61], v[58:59], -v[66:67]
	v_add_f64 v[56:57], v[66:67], v[58:59]
	v_add_f64 v[62:63], v[69:70], v[71:72]
	v_add_f64 v[58:59], v[71:72], -v[69:70]
	v_add_f64 v[52:53], v[42:43], v[73:74]
	v_add_f64 v[54:55], v[75:76], -v[40:41]
	v_add_f64 v[64:65], v[73:74], -v[42:43]
	v_add_f64 v[66:67], v[40:41], v[75:76]
	v_add_f64 v[48:49], v[79:80], v[86:87]
	v_add_f64 v[50:51], v[88:89], -v[77:78]
	v_add_f64 v[40:41], v[86:87], -v[79:80]
	v_add_f64 v[42:43], v[77:78], v[88:89]
	s_and_saveexec_b32 s1, s0
	s_cbranch_execz .LBB0_11
; %bb.10:
	ds_write_b128 v82, v[44:47]
	ds_write_b128 v82, v[48:51] offset:864
	ds_write_b128 v82, v[52:55] offset:1728
	;; [unrolled: 1-line block ×6, first 2 shown]
.LBB0_11:
	s_or_b32 exec_lo, exec_lo, s1
	s_waitcnt lgkmcnt(0)
	s_barrier
	buffer_gl0_inv
	s_and_saveexec_b32 s2, vcc_lo
	s_cbranch_execz .LBB0_13
; %bb.12:
	v_add_co_u32 v86, s1, s14, v82
	v_add_co_ci_u32_e64 v87, null, s15, 0, s1
	v_add_co_u32 v69, s1, 0x1000, v86
	v_add_co_ci_u32_e64 v70, s1, 0, v87, s1
	v_add_co_u32 v77, s1, 0x17a0, v86
	v_add_co_ci_u32_e64 v78, s1, 0, v87, s1
	v_add_co_u32 v90, s1, 0x2000, v86
	v_add_co_ci_u32_e64 v91, s1, 0, v87, s1
	v_add_co_u32 v94, s1, 0x2800, v86
	s_clause 0x2
	global_load_dwordx4 v[69:72], v[69:70], off offset:1952
	global_load_dwordx4 v[73:76], v[77:78], off offset:1008
	;; [unrolled: 1-line block ×3, first 2 shown]
	v_add_co_ci_u32_e64 v95, s1, 0, v87, s1
	s_clause 0x2
	global_load_dwordx4 v[86:89], v[90:91], off offset:880
	global_load_dwordx4 v[90:93], v[90:91], off offset:1888
	;; [unrolled: 1-line block ×3, first 2 shown]
	ds_read_b128 v[98:101], v82
	ds_read_b128 v[102:105], v82 offset:1008
	ds_read_b128 v[106:109], v82 offset:2016
	;; [unrolled: 1-line block ×5, first 2 shown]
	s_waitcnt vmcnt(5) lgkmcnt(5)
	v_mul_f64 v[122:123], v[100:101], v[71:72]
	v_mul_f64 v[71:72], v[98:99], v[71:72]
	s_waitcnt vmcnt(4) lgkmcnt(4)
	v_mul_f64 v[124:125], v[104:105], v[75:76]
	v_mul_f64 v[75:76], v[102:103], v[75:76]
	;; [unrolled: 3-line block ×6, first 2 shown]
	v_fma_f64 v[96:97], v[98:99], v[69:70], -v[122:123]
	v_fma_f64 v[98:99], v[100:101], v[69:70], v[71:72]
	v_fma_f64 v[69:70], v[102:103], v[73:74], -v[124:125]
	v_fma_f64 v[71:72], v[104:105], v[73:74], v[75:76]
	;; [unrolled: 2-line block ×6, first 2 shown]
	ds_write_b128 v82, v[96:99]
	ds_write_b128 v82, v[69:72] offset:1008
	ds_write_b128 v82, v[73:76] offset:2016
	;; [unrolled: 1-line block ×5, first 2 shown]
.LBB0_13:
	s_or_b32 exec_lo, exec_lo, s2
	s_waitcnt lgkmcnt(0)
	s_barrier
	buffer_gl0_inv
	s_and_saveexec_b32 s1, vcc_lo
	s_cbranch_execz .LBB0_15
; %bb.14:
	ds_read_b128 v[44:47], v82
	ds_read_b128 v[48:51], v82 offset:1008
	ds_read_b128 v[52:55], v82 offset:2016
	;; [unrolled: 1-line block ×5, first 2 shown]
.LBB0_15:
	s_or_b32 exec_lo, exec_lo, s1
	s_waitcnt lgkmcnt(0)
	v_add_f64 v[69:70], v[62:63], v[66:67]
	v_add_f64 v[71:72], v[60:61], v[64:65]
	v_add_f64 v[73:74], v[60:61], -v[64:65]
	s_mov_b32 s2, 0xe8584caa
	s_mov_b32 s3, 0xbfebb67a
	;; [unrolled: 1-line block ×4, first 2 shown]
	v_add_f64 v[75:76], v[52:53], v[56:57]
	v_add_f64 v[77:78], v[54:55], v[58:59]
	v_add_f64 v[79:80], v[62:63], -v[66:67]
	v_add_f64 v[88:89], v[54:55], -v[58:59]
	v_add_f64 v[54:55], v[46:47], v[54:55]
	s_barrier
	buffer_gl0_inv
	v_fma_f64 v[69:70], v[69:70], -0.5, v[50:51]
	v_fma_f64 v[71:72], v[71:72], -0.5, v[48:49]
	v_add_f64 v[48:49], v[48:49], v[60:61]
	v_add_f64 v[50:51], v[50:51], v[62:63]
	v_fma_f64 v[46:47], v[77:78], -0.5, v[46:47]
	v_fma_f64 v[86:87], v[73:74], s[8:9], v[69:70]
	v_fma_f64 v[69:70], v[73:74], s[2:3], v[69:70]
	v_add_f64 v[73:74], v[44:45], v[52:53]
	v_add_f64 v[52:53], v[52:53], -v[56:57]
	v_fma_f64 v[44:45], v[75:76], -0.5, v[44:45]
	v_fma_f64 v[77:78], v[79:80], s[2:3], v[71:72]
	v_fma_f64 v[79:80], v[79:80], s[8:9], v[71:72]
	v_add_f64 v[71:72], v[50:51], v[66:67]
	v_mul_f64 v[90:91], v[86:87], s[2:3]
	v_mul_f64 v[92:93], v[69:70], s[2:3]
	v_mul_f64 v[86:87], v[86:87], 0.5
	v_mul_f64 v[94:95], v[69:70], -0.5
	v_add_f64 v[56:57], v[73:74], v[56:57]
	v_add_f64 v[69:70], v[54:55], v[58:59]
	;; [unrolled: 1-line block ×3, first 2 shown]
	v_fma_f64 v[60:61], v[88:89], s[2:3], v[44:45]
	v_fma_f64 v[62:63], v[88:89], s[8:9], v[44:45]
	;; [unrolled: 1-line block ×4, first 2 shown]
	v_fma_f64 v[64:65], v[77:78], 0.5, v[90:91]
	v_fma_f64 v[66:67], v[79:80], -0.5, v[92:93]
	v_fma_f64 v[77:78], v[77:78], s[8:9], v[86:87]
	v_fma_f64 v[79:80], v[79:80], s[8:9], v[94:95]
	v_add_f64 v[46:47], v[69:70], -v[71:72]
	v_add_f64 v[44:45], v[56:57], -v[58:59]
	;; [unrolled: 1-line block ×6, first 2 shown]
	s_and_saveexec_b32 s1, vcc_lo
	s_cbranch_execz .LBB0_17
; %bb.16:
	v_add_f64 v[71:72], v[69:70], v[71:72]
	v_add_f64 v[69:70], v[56:57], v[58:59]
	;; [unrolled: 1-line block ×6, first 2 shown]
	v_mov_b32_e32 v56, 4
	v_lshlrev_b32_sdwa v56, v56, v83 dst_sel:DWORD dst_unused:UNUSED_PAD src0_sel:DWORD src1_sel:WORD_0
	ds_write_b128 v56, v[44:47] offset:48
	ds_write_b128 v56, v[48:51] offset:64
	ds_write_b128 v56, v[69:72]
	ds_write_b128 v56, v[77:80] offset:16
	ds_write_b128 v56, v[73:76] offset:32
	;; [unrolled: 1-line block ×3, first 2 shown]
.LBB0_17:
	s_or_b32 exec_lo, exec_lo, s1
	s_waitcnt lgkmcnt(0)
	s_barrier
	buffer_gl0_inv
	ds_read_b128 v[56:59], v82 offset:2016
	ds_read_b128 v[60:63], v82 offset:4032
	s_waitcnt lgkmcnt(1)
	v_mul_f64 v[64:65], v[6:7], v[58:59]
	s_waitcnt lgkmcnt(0)
	v_mul_f64 v[66:67], v[2:3], v[62:63]
	v_mul_f64 v[6:7], v[6:7], v[56:57]
	;; [unrolled: 1-line block ×3, first 2 shown]
	v_fma_f64 v[56:57], v[4:5], v[56:57], v[64:65]
	v_fma_f64 v[60:61], v[0:1], v[60:61], v[66:67]
	v_fma_f64 v[4:5], v[4:5], v[58:59], -v[6:7]
	v_fma_f64 v[6:7], v[0:1], v[62:63], -v[2:3]
	ds_read_b128 v[0:3], v82
	s_waitcnt lgkmcnt(0)
	s_barrier
	buffer_gl0_inv
	v_add_f64 v[58:59], v[56:57], v[60:61]
	v_add_f64 v[64:65], v[0:1], v[56:57]
	;; [unrolled: 1-line block ×3, first 2 shown]
	v_add_f64 v[66:67], v[4:5], -v[6:7]
	v_add_f64 v[4:5], v[2:3], v[4:5]
	v_add_f64 v[69:70], v[56:57], -v[60:61]
	v_fma_f64 v[58:59], v[58:59], -0.5, v[0:1]
	v_add_f64 v[0:1], v[64:65], v[60:61]
	v_fma_f64 v[62:63], v[62:63], -0.5, v[2:3]
	v_add_f64 v[2:3], v[4:5], v[6:7]
	v_fma_f64 v[4:5], v[66:67], s[2:3], v[58:59]
	v_fma_f64 v[56:57], v[66:67], s[8:9], v[58:59]
	;; [unrolled: 1-line block ×4, first 2 shown]
	ds_write_b128 v85, v[0:3]
	ds_write_b128 v85, v[4:7] offset:96
	ds_write_b128 v85, v[56:59] offset:192
	s_waitcnt lgkmcnt(0)
	s_barrier
	buffer_gl0_inv
	ds_read_b128 v[0:3], v82 offset:2016
	ds_read_b128 v[4:7], v82 offset:4032
	s_waitcnt lgkmcnt(1)
	v_mul_f64 v[56:57], v[22:23], v[2:3]
	s_waitcnt lgkmcnt(0)
	v_mul_f64 v[58:59], v[18:19], v[6:7]
	v_mul_f64 v[22:23], v[22:23], v[0:1]
	;; [unrolled: 1-line block ×3, first 2 shown]
	v_fma_f64 v[56:57], v[20:21], v[0:1], v[56:57]
	v_fma_f64 v[4:5], v[16:17], v[4:5], v[58:59]
	v_fma_f64 v[20:21], v[20:21], v[2:3], -v[22:23]
	v_fma_f64 v[6:7], v[16:17], v[6:7], -v[18:19]
	ds_read_b128 v[0:3], v82
	s_waitcnt lgkmcnt(0)
	s_barrier
	buffer_gl0_inv
	v_add_f64 v[16:17], v[56:57], v[4:5]
	v_add_f64 v[22:23], v[0:1], v[56:57]
	;; [unrolled: 1-line block ×3, first 2 shown]
	v_add_f64 v[58:59], v[20:21], -v[6:7]
	v_add_f64 v[20:21], v[2:3], v[20:21]
	v_add_f64 v[56:57], v[56:57], -v[4:5]
	v_fma_f64 v[16:17], v[16:17], -0.5, v[0:1]
	v_add_f64 v[0:1], v[22:23], v[4:5]
	v_fma_f64 v[18:19], v[18:19], -0.5, v[2:3]
	v_add_f64 v[2:3], v[20:21], v[6:7]
	v_fma_f64 v[4:5], v[58:59], s[2:3], v[16:17]
	v_fma_f64 v[16:17], v[58:59], s[8:9], v[16:17]
	;; [unrolled: 1-line block ×4, first 2 shown]
	ds_write_b128 v84, v[0:3]
	ds_write_b128 v84, v[4:7] offset:288
	ds_write_b128 v84, v[16:19] offset:576
	s_waitcnt lgkmcnt(0)
	s_barrier
	buffer_gl0_inv
	s_and_saveexec_b32 s1, s0
	s_cbranch_execz .LBB0_19
; %bb.18:
	ds_read_b128 v[0:3], v82
	ds_read_b128 v[4:7], v82 offset:864
	ds_read_b128 v[16:19], v82 offset:1728
	;; [unrolled: 1-line block ×6, first 2 shown]
.LBB0_19:
	s_or_b32 exec_lo, exec_lo, s1
	s_and_saveexec_b32 s1, s0
	s_cbranch_execz .LBB0_21
; %bb.20:
	s_waitcnt lgkmcnt(0)
	v_mul_f64 v[20:21], v[38:39], v[40:41]
	v_mul_f64 v[22:23], v[14:15], v[4:5]
	;; [unrolled: 1-line block ×12, first 2 shown]
	s_mov_b32 s2, 0xe976ee23
	s_mov_b32 s3, 0x3fe11646
	;; [unrolled: 1-line block ×10, first 2 shown]
	v_fma_f64 v[20:21], v[36:37], v[42:43], -v[20:21]
	v_fma_f64 v[6:7], v[12:13], v[6:7], -v[22:23]
	;; [unrolled: 1-line block ×4, first 2 shown]
	v_fma_f64 v[4:5], v[12:13], v[4:5], v[14:15]
	v_fma_f64 v[12:13], v[36:37], v[40:41], v[38:39]
	;; [unrolled: 1-line block ×6, first 2 shown]
	v_fma_f64 v[28:29], v[28:29], v[46:47], -v[30:31]
	v_fma_f64 v[24:25], v[24:25], v[50:51], -v[26:27]
	v_add_f64 v[26:27], v[6:7], v[20:21]
	v_add_f64 v[6:7], v[6:7], -v[20:21]
	v_add_f64 v[30:31], v[18:19], v[22:23]
	v_add_f64 v[18:19], v[18:19], -v[22:23]
	v_add_f64 v[32:33], v[4:5], v[12:13]
	v_add_f64 v[4:5], v[4:5], -v[12:13]
	v_add_f64 v[34:35], v[8:9], v[10:11]
	v_add_f64 v[8:9], v[8:9], -v[10:11]
	v_add_f64 v[36:37], v[14:15], -v[16:17]
	v_add_f64 v[14:15], v[16:17], v[14:15]
	v_add_f64 v[10:11], v[28:29], v[24:25]
	v_add_f64 v[24:25], v[24:25], -v[28:29]
	v_add_f64 v[12:13], v[30:31], v[26:27]
	v_add_f64 v[42:43], v[18:19], -v[6:7]
	;; [unrolled: 2-line block ×3, first 2 shown]
	v_add_f64 v[20:21], v[36:37], -v[8:9]
	v_add_f64 v[38:39], v[32:33], -v[14:15]
	;; [unrolled: 1-line block ×5, first 2 shown]
	v_add_f64 v[8:9], v[36:37], v[8:9]
	v_add_f64 v[36:37], v[6:7], -v[24:25]
	v_add_f64 v[26:27], v[30:31], -v[26:27]
	v_add_f64 v[18:19], v[24:25], v[18:19]
	v_add_f64 v[12:13], v[10:11], v[12:13]
	v_add_f64 v[10:11], v[10:11], -v[30:31]
	v_add_f64 v[30:31], v[34:35], -v[32:33]
	v_add_f64 v[16:17], v[14:15], v[16:17]
	v_add_f64 v[14:15], v[14:15], -v[34:35]
	v_mul_f64 v[20:21], v[20:21], s[2:3]
	v_mul_f64 v[32:33], v[38:39], s[8:9]
	;; [unrolled: 1-line block ×4, first 2 shown]
	s_mov_b32 s2, 0x36b3c0b5
	s_mov_b32 s3, 0x3fac98ee
	v_mul_f64 v[34:35], v[40:41], s[10:11]
	v_mul_f64 v[38:39], v[42:43], s[10:11]
	s_mov_b32 s9, 0xbfd5d0dc
	s_mov_b32 s8, 0xb247c609
	v_add_f64 v[4:5], v[8:9], v[4:5]
	v_add_f64 v[6:7], v[18:19], v[6:7]
	;; [unrolled: 1-line block ×3, first 2 shown]
	v_mul_f64 v[24:25], v[10:11], s[2:3]
	v_add_f64 v[0:1], v[0:1], v[16:17]
	v_mul_f64 v[46:47], v[14:15], s[2:3]
	v_fma_f64 v[8:9], v[44:45], s[8:9], v[20:21]
	v_fma_f64 v[50:51], v[30:31], s[18:19], -v[32:33]
	v_fma_f64 v[10:11], v[10:11], s[2:3], v[22:23]
	v_fma_f64 v[48:49], v[36:37], s[8:9], v[28:29]
	s_mov_b32 s9, 0x3fd5d0dc
	v_fma_f64 v[22:23], v[26:27], s[18:19], -v[22:23]
	s_mov_b32 s19, 0x3fe77f67
	v_fma_f64 v[14:15], v[14:15], s[2:3], v[32:33]
	v_fma_f64 v[20:21], v[40:41], s[10:11], -v[20:21]
	v_fma_f64 v[34:35], v[44:45], s[8:9], -v[34:35]
	s_mov_b32 s2, 0x37c3f68c
	s_mov_b32 s3, 0xbfdc38aa
	v_fma_f64 v[12:13], v[12:13], s[16:17], v[2:3]
	v_fma_f64 v[18:19], v[26:27], s[18:19], -v[24:25]
	v_fma_f64 v[26:27], v[36:37], s[8:9], -v[38:39]
	;; [unrolled: 1-line block ×3, first 2 shown]
	v_fma_f64 v[16:17], v[16:17], s[16:17], v[0:1]
	v_fma_f64 v[28:29], v[30:31], s[18:19], -v[46:47]
	v_fma_f64 v[8:9], v[4:5], s[2:3], v[8:9]
	v_fma_f64 v[32:33], v[6:7], s[2:3], v[48:49]
	;; [unrolled: 1-line block ×4, first 2 shown]
	v_add_f64 v[30:31], v[10:11], v[12:13]
	v_add_f64 v[22:23], v[22:23], v[12:13]
	;; [unrolled: 1-line block ×3, first 2 shown]
	v_fma_f64 v[36:37], v[6:7], s[2:3], v[26:27]
	v_add_f64 v[38:39], v[14:15], v[16:17]
	v_add_f64 v[40:41], v[50:51], v[16:17]
	v_fma_f64 v[34:35], v[6:7], s[2:3], v[24:25]
	v_add_f64 v[28:29], v[28:29], v[16:17]
	v_add_f64 v[26:27], v[30:31], -v[8:9]
	v_add_f64 v[10:11], v[4:5], v[22:23]
	v_add_f64 v[14:15], v[12:13], -v[20:21]
	v_add_f64 v[18:19], v[20:21], v[12:13]
	v_add_f64 v[24:25], v[32:33], v[38:39]
	v_add_f64 v[22:23], v[22:23], -v[4:5]
	v_add_f64 v[20:21], v[36:37], v[40:41]
	v_add_f64 v[16:17], v[28:29], -v[34:35]
	v_add_f64 v[12:13], v[34:35], v[28:29]
	v_add_f64 v[6:7], v[8:9], v[30:31]
	v_add_f64 v[8:9], v[40:41], -v[36:37]
	v_add_f64 v[4:5], v[38:39], -v[32:33]
	ds_write_b128 v82, v[0:3]
	ds_write_b128 v82, v[24:27] offset:864
	ds_write_b128 v82, v[20:23] offset:1728
	;; [unrolled: 1-line block ×6, first 2 shown]
.LBB0_21:
	s_or_b32 exec_lo, exec_lo, s1
	s_waitcnt lgkmcnt(0)
	s_barrier
	buffer_gl0_inv
	s_and_b32 exec_lo, exec_lo, vcc_lo
	s_cbranch_execz .LBB0_23
; %bb.22:
	v_add_co_u32 v12, s0, s14, v82
	v_add_co_ci_u32_e64 v13, null, s15, 0, s0
	s_clause 0x2
	global_load_dwordx4 v[0:3], v82, s[14:15]
	global_load_dwordx4 v[4:7], v82, s[14:15] offset:1008
	global_load_dwordx4 v[8:11], v82, s[14:15] offset:2016
	v_add_co_u32 v16, vcc_lo, 0x800, v12
	v_add_co_ci_u32_e32 v17, vcc_lo, 0, v13, vcc_lo
	v_add_co_u32 v20, vcc_lo, 0x1000, v12
	v_add_co_ci_u32_e32 v21, vcc_lo, 0, v13, vcc_lo
	s_clause 0x2
	global_load_dwordx4 v[12:15], v[16:17], off offset:976
	global_load_dwordx4 v[16:19], v[16:17], off offset:1984
	;; [unrolled: 1-line block ×3, first 2 shown]
	v_mad_u64_u32 v[48:49], null, s6, v68, 0
	v_mad_u64_u32 v[50:51], null, s4, v81, 0
	ds_read_b128 v[24:27], v82
	ds_read_b128 v[28:31], v82 offset:1008
	ds_read_b128 v[32:35], v82 offset:2016
	;; [unrolled: 1-line block ×5, first 2 shown]
	s_mov_b32 s0, 0x6b015ac0
	s_mov_b32 s1, 0x3f65ac05
	s_mul_i32 s2, s5, 0x3f0
	s_mul_hi_u32 s3, s4, 0x3f0
	s_mulk_i32 s4, 0x3f0
	v_mad_u64_u32 v[52:53], null, s7, v68, v[49:50]
	s_add_i32 s3, s3, s2
	v_mad_u64_u32 v[53:54], null, s5, v81, v[51:52]
	v_mov_b32_e32 v49, v52
	v_lshlrev_b64 v[48:49], 4, v[48:49]
	v_mov_b32_e32 v51, v53
	v_lshlrev_b64 v[50:51], 4, v[50:51]
	v_add_co_u32 v48, vcc_lo, s12, v48
	v_add_co_ci_u32_e32 v49, vcc_lo, s13, v49, vcc_lo
	s_waitcnt vmcnt(5) lgkmcnt(5)
	v_mul_f64 v[52:53], v[26:27], v[2:3]
	v_mul_f64 v[2:3], v[24:25], v[2:3]
	s_waitcnt vmcnt(4) lgkmcnt(4)
	v_mul_f64 v[54:55], v[30:31], v[6:7]
	v_mul_f64 v[6:7], v[28:29], v[6:7]
	;; [unrolled: 3-line block ×6, first 2 shown]
	v_fma_f64 v[24:25], v[24:25], v[0:1], v[52:53]
	v_fma_f64 v[2:3], v[0:1], v[26:27], -v[2:3]
	v_fma_f64 v[26:27], v[28:29], v[4:5], v[54:55]
	v_fma_f64 v[6:7], v[4:5], v[30:31], -v[6:7]
	;; [unrolled: 2-line block ×6, first 2 shown]
	v_add_co_u32 v36, vcc_lo, v48, v50
	v_add_co_ci_u32_e32 v37, vcc_lo, v49, v51, vcc_lo
	v_add_co_u32 v38, vcc_lo, v36, s4
	v_mul_f64 v[0:1], v[24:25], s[0:1]
	v_mul_f64 v[2:3], v[2:3], s[0:1]
	;; [unrolled: 1-line block ×4, first 2 shown]
	v_add_co_ci_u32_e32 v39, vcc_lo, s3, v37, vcc_lo
	v_mul_f64 v[8:9], v[28:29], s[0:1]
	v_mul_f64 v[10:11], v[10:11], s[0:1]
	v_add_co_u32 v24, vcc_lo, v38, s4
	v_mul_f64 v[12:13], v[30:31], s[0:1]
	v_mul_f64 v[14:15], v[14:15], s[0:1]
	;; [unrolled: 1-line block ×6, first 2 shown]
	v_add_co_ci_u32_e32 v25, vcc_lo, s3, v39, vcc_lo
	v_add_co_u32 v26, vcc_lo, v24, s4
	v_add_co_ci_u32_e32 v27, vcc_lo, s3, v25, vcc_lo
	v_add_co_u32 v28, vcc_lo, v26, s4
	;; [unrolled: 2-line block ×3, first 2 shown]
	v_add_co_ci_u32_e32 v31, vcc_lo, s3, v29, vcc_lo
	global_store_dwordx4 v[36:37], v[0:3], off
	global_store_dwordx4 v[38:39], v[4:7], off
	;; [unrolled: 1-line block ×6, first 2 shown]
.LBB0_23:
	s_endpgm
	.section	.rodata,"a",@progbits
	.p2align	6, 0x0
	.amdhsa_kernel bluestein_single_back_len378_dim1_dp_op_CI_CI
		.amdhsa_group_segment_fixed_size 6048
		.amdhsa_private_segment_fixed_size 0
		.amdhsa_kernarg_size 104
		.amdhsa_user_sgpr_count 6
		.amdhsa_user_sgpr_private_segment_buffer 1
		.amdhsa_user_sgpr_dispatch_ptr 0
		.amdhsa_user_sgpr_queue_ptr 0
		.amdhsa_user_sgpr_kernarg_segment_ptr 1
		.amdhsa_user_sgpr_dispatch_id 0
		.amdhsa_user_sgpr_flat_scratch_init 0
		.amdhsa_user_sgpr_private_segment_size 0
		.amdhsa_wavefront_size32 1
		.amdhsa_uses_dynamic_stack 0
		.amdhsa_system_sgpr_private_segment_wavefront_offset 0
		.amdhsa_system_sgpr_workgroup_id_x 1
		.amdhsa_system_sgpr_workgroup_id_y 0
		.amdhsa_system_sgpr_workgroup_id_z 0
		.amdhsa_system_sgpr_workgroup_info 0
		.amdhsa_system_vgpr_workitem_id 0
		.amdhsa_next_free_vgpr 136
		.amdhsa_next_free_sgpr 20
		.amdhsa_reserve_vcc 1
		.amdhsa_reserve_flat_scratch 0
		.amdhsa_float_round_mode_32 0
		.amdhsa_float_round_mode_16_64 0
		.amdhsa_float_denorm_mode_32 3
		.amdhsa_float_denorm_mode_16_64 3
		.amdhsa_dx10_clamp 1
		.amdhsa_ieee_mode 1
		.amdhsa_fp16_overflow 0
		.amdhsa_workgroup_processor_mode 1
		.amdhsa_memory_ordered 1
		.amdhsa_forward_progress 0
		.amdhsa_shared_vgpr_count 0
		.amdhsa_exception_fp_ieee_invalid_op 0
		.amdhsa_exception_fp_denorm_src 0
		.amdhsa_exception_fp_ieee_div_zero 0
		.amdhsa_exception_fp_ieee_overflow 0
		.amdhsa_exception_fp_ieee_underflow 0
		.amdhsa_exception_fp_ieee_inexact 0
		.amdhsa_exception_int_div_zero 0
	.end_amdhsa_kernel
	.text
.Lfunc_end0:
	.size	bluestein_single_back_len378_dim1_dp_op_CI_CI, .Lfunc_end0-bluestein_single_back_len378_dim1_dp_op_CI_CI
                                        ; -- End function
	.section	.AMDGPU.csdata,"",@progbits
; Kernel info:
; codeLenInByte = 6800
; NumSgprs: 22
; NumVgprs: 136
; ScratchSize: 0
; MemoryBound: 0
; FloatMode: 240
; IeeeMode: 1
; LDSByteSize: 6048 bytes/workgroup (compile time only)
; SGPRBlocks: 2
; VGPRBlocks: 16
; NumSGPRsForWavesPerEU: 22
; NumVGPRsForWavesPerEU: 136
; Occupancy: 7
; WaveLimiterHint : 1
; COMPUTE_PGM_RSRC2:SCRATCH_EN: 0
; COMPUTE_PGM_RSRC2:USER_SGPR: 6
; COMPUTE_PGM_RSRC2:TRAP_HANDLER: 0
; COMPUTE_PGM_RSRC2:TGID_X_EN: 1
; COMPUTE_PGM_RSRC2:TGID_Y_EN: 0
; COMPUTE_PGM_RSRC2:TGID_Z_EN: 0
; COMPUTE_PGM_RSRC2:TIDIG_COMP_CNT: 0
	.text
	.p2alignl 6, 3214868480
	.fill 48, 4, 3214868480
	.type	__hip_cuid_649403447856f10a,@object ; @__hip_cuid_649403447856f10a
	.section	.bss,"aw",@nobits
	.globl	__hip_cuid_649403447856f10a
__hip_cuid_649403447856f10a:
	.byte	0                               ; 0x0
	.size	__hip_cuid_649403447856f10a, 1

	.ident	"AMD clang version 19.0.0git (https://github.com/RadeonOpenCompute/llvm-project roc-6.4.0 25133 c7fe45cf4b819c5991fe208aaa96edf142730f1d)"
	.section	".note.GNU-stack","",@progbits
	.addrsig
	.addrsig_sym __hip_cuid_649403447856f10a
	.amdgpu_metadata
---
amdhsa.kernels:
  - .args:
      - .actual_access:  read_only
        .address_space:  global
        .offset:         0
        .size:           8
        .value_kind:     global_buffer
      - .actual_access:  read_only
        .address_space:  global
        .offset:         8
        .size:           8
        .value_kind:     global_buffer
      - .actual_access:  read_only
        .address_space:  global
        .offset:         16
        .size:           8
        .value_kind:     global_buffer
      - .actual_access:  read_only
        .address_space:  global
        .offset:         24
        .size:           8
        .value_kind:     global_buffer
      - .actual_access:  read_only
        .address_space:  global
        .offset:         32
        .size:           8
        .value_kind:     global_buffer
      - .offset:         40
        .size:           8
        .value_kind:     by_value
      - .address_space:  global
        .offset:         48
        .size:           8
        .value_kind:     global_buffer
      - .address_space:  global
        .offset:         56
        .size:           8
        .value_kind:     global_buffer
      - .address_space:  global
        .offset:         64
        .size:           8
        .value_kind:     global_buffer
      - .address_space:  global
        .offset:         72
        .size:           8
        .value_kind:     global_buffer
      - .offset:         80
        .size:           4
        .value_kind:     by_value
      - .address_space:  global
        .offset:         88
        .size:           8
        .value_kind:     global_buffer
      - .address_space:  global
        .offset:         96
        .size:           8
        .value_kind:     global_buffer
    .group_segment_fixed_size: 6048
    .kernarg_segment_align: 8
    .kernarg_segment_size: 104
    .language:       OpenCL C
    .language_version:
      - 2
      - 0
    .max_flat_workgroup_size: 126
    .name:           bluestein_single_back_len378_dim1_dp_op_CI_CI
    .private_segment_fixed_size: 0
    .sgpr_count:     22
    .sgpr_spill_count: 0
    .symbol:         bluestein_single_back_len378_dim1_dp_op_CI_CI.kd
    .uniform_work_group_size: 1
    .uses_dynamic_stack: false
    .vgpr_count:     136
    .vgpr_spill_count: 0
    .wavefront_size: 32
    .workgroup_processor_mode: 1
amdhsa.target:   amdgcn-amd-amdhsa--gfx1030
amdhsa.version:
  - 1
  - 2
...

	.end_amdgpu_metadata
